;; amdgpu-corpus repo=ROCm/rocFFT kind=compiled arch=gfx906 opt=O3
	.text
	.amdgcn_target "amdgcn-amd-amdhsa--gfx906"
	.amdhsa_code_object_version 6
	.protected	fft_rtc_fwd_len540_factors_3_10_6_3_wgs_216_tpt_54_halfLds_sp_ip_CI_unitstride_sbrr_dirReg ; -- Begin function fft_rtc_fwd_len540_factors_3_10_6_3_wgs_216_tpt_54_halfLds_sp_ip_CI_unitstride_sbrr_dirReg
	.globl	fft_rtc_fwd_len540_factors_3_10_6_3_wgs_216_tpt_54_halfLds_sp_ip_CI_unitstride_sbrr_dirReg
	.p2align	8
	.type	fft_rtc_fwd_len540_factors_3_10_6_3_wgs_216_tpt_54_halfLds_sp_ip_CI_unitstride_sbrr_dirReg,@function
fft_rtc_fwd_len540_factors_3_10_6_3_wgs_216_tpt_54_halfLds_sp_ip_CI_unitstride_sbrr_dirReg: ; @fft_rtc_fwd_len540_factors_3_10_6_3_wgs_216_tpt_54_halfLds_sp_ip_CI_unitstride_sbrr_dirReg
; %bb.0:
	s_load_dwordx2 s[12:13], s[4:5], 0x50
	s_load_dwordx4 s[8:11], s[4:5], 0x0
	s_load_dwordx2 s[2:3], s[4:5], 0x18
	v_mul_u32_u24_e32 v1, 0x4be, v0
	v_lshrrev_b32_e32 v14, 16, v1
	v_mov_b32_e32 v3, 0
	s_waitcnt lgkmcnt(0)
	v_cmp_lt_u64_e64 s[0:1], s[10:11], 2
	v_mov_b32_e32 v1, 0
	v_lshl_add_u32 v5, s6, 2, v14
	v_mov_b32_e32 v6, v3
	s_and_b64 vcc, exec, s[0:1]
	v_mov_b32_e32 v2, 0
	s_cbranch_vccnz .LBB0_8
; %bb.1:
	s_load_dwordx2 s[0:1], s[4:5], 0x10
	s_add_u32 s6, s2, 8
	s_addc_u32 s7, s3, 0
	v_mov_b32_e32 v1, 0
	v_mov_b32_e32 v2, 0
	s_waitcnt lgkmcnt(0)
	s_add_u32 s14, s0, 8
	s_addc_u32 s15, s1, 0
	s_mov_b64 s[16:17], 1
.LBB0_2:                                ; =>This Inner Loop Header: Depth=1
	s_load_dwordx2 s[18:19], s[14:15], 0x0
                                        ; implicit-def: $vgpr7_vgpr8
	s_waitcnt lgkmcnt(0)
	v_or_b32_e32 v4, s19, v6
	v_cmp_ne_u64_e32 vcc, 0, v[3:4]
	s_and_saveexec_b64 s[0:1], vcc
	s_xor_b64 s[20:21], exec, s[0:1]
	s_cbranch_execz .LBB0_4
; %bb.3:                                ;   in Loop: Header=BB0_2 Depth=1
	v_cvt_f32_u32_e32 v4, s18
	v_cvt_f32_u32_e32 v7, s19
	s_sub_u32 s0, 0, s18
	s_subb_u32 s1, 0, s19
	v_mac_f32_e32 v4, 0x4f800000, v7
	v_rcp_f32_e32 v4, v4
	v_mul_f32_e32 v4, 0x5f7ffffc, v4
	v_mul_f32_e32 v7, 0x2f800000, v4
	v_trunc_f32_e32 v7, v7
	v_mac_f32_e32 v4, 0xcf800000, v7
	v_cvt_u32_f32_e32 v7, v7
	v_cvt_u32_f32_e32 v4, v4
	v_mul_lo_u32 v8, s0, v7
	v_mul_hi_u32 v9, s0, v4
	v_mul_lo_u32 v11, s1, v4
	v_mul_lo_u32 v10, s0, v4
	v_add_u32_e32 v8, v9, v8
	v_add_u32_e32 v8, v8, v11
	v_mul_hi_u32 v9, v4, v10
	v_mul_lo_u32 v11, v4, v8
	v_mul_hi_u32 v13, v4, v8
	v_mul_hi_u32 v12, v7, v10
	v_mul_lo_u32 v10, v7, v10
	v_mul_hi_u32 v15, v7, v8
	v_add_co_u32_e32 v9, vcc, v9, v11
	v_addc_co_u32_e32 v11, vcc, 0, v13, vcc
	v_mul_lo_u32 v8, v7, v8
	v_add_co_u32_e32 v9, vcc, v9, v10
	v_addc_co_u32_e32 v9, vcc, v11, v12, vcc
	v_addc_co_u32_e32 v10, vcc, 0, v15, vcc
	v_add_co_u32_e32 v8, vcc, v9, v8
	v_addc_co_u32_e32 v9, vcc, 0, v10, vcc
	v_add_co_u32_e32 v4, vcc, v4, v8
	v_addc_co_u32_e32 v7, vcc, v7, v9, vcc
	v_mul_lo_u32 v8, s0, v7
	v_mul_hi_u32 v9, s0, v4
	v_mul_lo_u32 v10, s1, v4
	v_mul_lo_u32 v11, s0, v4
	v_add_u32_e32 v8, v9, v8
	v_add_u32_e32 v8, v8, v10
	v_mul_lo_u32 v12, v4, v8
	v_mul_hi_u32 v13, v4, v11
	v_mul_hi_u32 v15, v4, v8
	;; [unrolled: 1-line block ×3, first 2 shown]
	v_mul_lo_u32 v11, v7, v11
	v_mul_hi_u32 v9, v7, v8
	v_add_co_u32_e32 v12, vcc, v13, v12
	v_addc_co_u32_e32 v13, vcc, 0, v15, vcc
	v_mul_lo_u32 v8, v7, v8
	v_add_co_u32_e32 v11, vcc, v12, v11
	v_addc_co_u32_e32 v10, vcc, v13, v10, vcc
	v_addc_co_u32_e32 v9, vcc, 0, v9, vcc
	v_add_co_u32_e32 v8, vcc, v10, v8
	v_addc_co_u32_e32 v9, vcc, 0, v9, vcc
	v_add_co_u32_e32 v4, vcc, v4, v8
	v_addc_co_u32_e32 v9, vcc, v7, v9, vcc
	v_mad_u64_u32 v[7:8], s[0:1], v5, v9, 0
	v_mul_hi_u32 v10, v5, v4
	v_add_co_u32_e32 v11, vcc, v10, v7
	v_addc_co_u32_e32 v12, vcc, 0, v8, vcc
	v_mad_u64_u32 v[7:8], s[0:1], v6, v4, 0
	v_mad_u64_u32 v[9:10], s[0:1], v6, v9, 0
	v_add_co_u32_e32 v4, vcc, v11, v7
	v_addc_co_u32_e32 v4, vcc, v12, v8, vcc
	v_addc_co_u32_e32 v7, vcc, 0, v10, vcc
	v_add_co_u32_e32 v4, vcc, v4, v9
	v_addc_co_u32_e32 v9, vcc, 0, v7, vcc
	v_mul_lo_u32 v10, s19, v4
	v_mul_lo_u32 v11, s18, v9
	v_mad_u64_u32 v[7:8], s[0:1], s18, v4, 0
	v_add3_u32 v8, v8, v11, v10
	v_sub_u32_e32 v10, v6, v8
	v_mov_b32_e32 v11, s19
	v_sub_co_u32_e32 v7, vcc, v5, v7
	v_subb_co_u32_e64 v10, s[0:1], v10, v11, vcc
	v_subrev_co_u32_e64 v11, s[0:1], s18, v7
	v_subbrev_co_u32_e64 v10, s[0:1], 0, v10, s[0:1]
	v_cmp_le_u32_e64 s[0:1], s19, v10
	v_cndmask_b32_e64 v12, 0, -1, s[0:1]
	v_cmp_le_u32_e64 s[0:1], s18, v11
	v_cndmask_b32_e64 v11, 0, -1, s[0:1]
	v_cmp_eq_u32_e64 s[0:1], s19, v10
	v_cndmask_b32_e64 v10, v12, v11, s[0:1]
	v_add_co_u32_e64 v11, s[0:1], 2, v4
	v_addc_co_u32_e64 v12, s[0:1], 0, v9, s[0:1]
	v_add_co_u32_e64 v13, s[0:1], 1, v4
	v_addc_co_u32_e64 v15, s[0:1], 0, v9, s[0:1]
	v_subb_co_u32_e32 v8, vcc, v6, v8, vcc
	v_cmp_ne_u32_e64 s[0:1], 0, v10
	v_cmp_le_u32_e32 vcc, s19, v8
	v_cndmask_b32_e64 v10, v15, v12, s[0:1]
	v_cndmask_b32_e64 v12, 0, -1, vcc
	v_cmp_le_u32_e32 vcc, s18, v7
	v_cndmask_b32_e64 v7, 0, -1, vcc
	v_cmp_eq_u32_e32 vcc, s19, v8
	v_cndmask_b32_e32 v7, v12, v7, vcc
	v_cmp_ne_u32_e32 vcc, 0, v7
	v_cndmask_b32_e64 v7, v13, v11, s[0:1]
	v_cndmask_b32_e32 v8, v9, v10, vcc
	v_cndmask_b32_e32 v7, v4, v7, vcc
.LBB0_4:                                ;   in Loop: Header=BB0_2 Depth=1
	s_andn2_saveexec_b64 s[0:1], s[20:21]
	s_cbranch_execz .LBB0_6
; %bb.5:                                ;   in Loop: Header=BB0_2 Depth=1
	v_cvt_f32_u32_e32 v4, s18
	s_sub_i32 s20, 0, s18
	v_rcp_iflag_f32_e32 v4, v4
	v_mul_f32_e32 v4, 0x4f7ffffe, v4
	v_cvt_u32_f32_e32 v4, v4
	v_mul_lo_u32 v7, s20, v4
	v_mul_hi_u32 v7, v4, v7
	v_add_u32_e32 v4, v4, v7
	v_mul_hi_u32 v4, v5, v4
	v_mul_lo_u32 v7, v4, s18
	v_add_u32_e32 v8, 1, v4
	v_sub_u32_e32 v7, v5, v7
	v_subrev_u32_e32 v9, s18, v7
	v_cmp_le_u32_e32 vcc, s18, v7
	v_cndmask_b32_e32 v7, v7, v9, vcc
	v_cndmask_b32_e32 v4, v4, v8, vcc
	v_add_u32_e32 v8, 1, v4
	v_cmp_le_u32_e32 vcc, s18, v7
	v_cndmask_b32_e32 v7, v4, v8, vcc
	v_mov_b32_e32 v8, v3
.LBB0_6:                                ;   in Loop: Header=BB0_2 Depth=1
	s_or_b64 exec, exec, s[0:1]
	v_mul_lo_u32 v4, v8, s18
	v_mul_lo_u32 v11, v7, s19
	v_mad_u64_u32 v[9:10], s[0:1], v7, s18, 0
	s_load_dwordx2 s[0:1], s[6:7], 0x0
	s_add_u32 s16, s16, 1
	v_add3_u32 v4, v10, v11, v4
	v_sub_co_u32_e32 v5, vcc, v5, v9
	v_subb_co_u32_e32 v4, vcc, v6, v4, vcc
	s_waitcnt lgkmcnt(0)
	v_mul_lo_u32 v4, s0, v4
	v_mul_lo_u32 v6, s1, v5
	v_mad_u64_u32 v[1:2], s[0:1], s0, v5, v[1:2]
	s_addc_u32 s17, s17, 0
	s_add_u32 s6, s6, 8
	v_add3_u32 v2, v6, v2, v4
	v_mov_b32_e32 v4, s10
	v_mov_b32_e32 v5, s11
	s_addc_u32 s7, s7, 0
	v_cmp_ge_u64_e32 vcc, s[16:17], v[4:5]
	s_add_u32 s14, s14, 8
	s_addc_u32 s15, s15, 0
	s_cbranch_vccnz .LBB0_9
; %bb.7:                                ;   in Loop: Header=BB0_2 Depth=1
	v_mov_b32_e32 v5, v7
	v_mov_b32_e32 v6, v8
	s_branch .LBB0_2
.LBB0_8:
	v_mov_b32_e32 v8, v6
	v_mov_b32_e32 v7, v5
.LBB0_9:
	s_lshl_b64 s[0:1], s[10:11], 3
	s_add_u32 s0, s2, s0
	s_addc_u32 s1, s3, s1
	s_load_dwordx2 s[2:3], s[0:1], 0x0
	s_load_dwordx2 s[6:7], s[4:5], 0x20
                                        ; implicit-def: $vgpr24
                                        ; implicit-def: $vgpr22
                                        ; implicit-def: $vgpr20
                                        ; implicit-def: $vgpr9
                                        ; implicit-def: $vgpr11
                                        ; implicit-def: $vgpr16
                                        ; implicit-def: $vgpr26
                                        ; implicit-def: $vgpr13
                                        ; implicit-def: $vgpr18
                                        ; implicit-def: $vgpr30
                                        ; implicit-def: $vgpr28
	s_waitcnt lgkmcnt(0)
	v_mad_u64_u32 v[1:2], s[0:1], s2, v7, v[1:2]
	v_mul_lo_u32 v3, s2, v8
	v_mul_lo_u32 v4, s3, v7
	s_mov_b32 s0, 0x4bda130
	v_mul_hi_u32 v5, v0, s0
	v_cmp_gt_u64_e64 s[0:1], s[6:7], v[7:8]
	v_add3_u32 v2, v4, v2, v3
	v_lshlrev_b64 v[2:3], 3, v[1:2]
	v_mul_u32_u24_e32 v4, 54, v5
	v_sub_u32_e32 v0, v0, v4
                                        ; implicit-def: $vgpr7
	s_and_saveexec_b64 s[2:3], s[0:1]
	s_cbranch_execz .LBB0_13
; %bb.10:
	v_mov_b32_e32 v1, 0
	v_mov_b32_e32 v4, s13
	v_add_co_u32_e32 v6, vcc, s12, v2
	v_addc_co_u32_e32 v7, vcc, v4, v3, vcc
	v_lshlrev_b64 v[4:5], 3, v[0:1]
                                        ; implicit-def: $vgpr19
                                        ; implicit-def: $vgpr21
                                        ; implicit-def: $vgpr23
	v_add_co_u32_e32 v4, vcc, v6, v4
	v_addc_co_u32_e32 v5, vcc, v7, v5, vcc
	global_load_dwordx2 v[6:7], v[4:5], off
	global_load_dwordx2 v[17:18], v[4:5], off offset:432
	global_load_dwordx2 v[12:13], v[4:5], off offset:1872
	;; [unrolled: 1-line block ×8, first 2 shown]
	v_cmp_gt_u32_e32 vcc, 18, v0
	s_and_saveexec_b64 s[4:5], vcc
	s_cbranch_execz .LBB0_12
; %bb.11:
	v_add_co_u32_e32 v31, vcc, 0x1000, v4
	v_addc_co_u32_e32 v32, vcc, 0, v5, vcc
	global_load_dwordx2 v[19:20], v[4:5], off offset:1296
	global_load_dwordx2 v[21:22], v[4:5], off offset:2736
	;; [unrolled: 1-line block ×3, first 2 shown]
.LBB0_12:
	s_or_b64 exec, exec, s[4:5]
.LBB0_13:
	s_or_b64 exec, exec, s[2:3]
	s_waitcnt vmcnt(2)
	v_add_f32_e32 v4, v29, v27
	v_add_f32_e32 v1, v27, v6
	v_fmac_f32_e32 v6, -0.5, v4
	v_and_b32_e32 v4, 3, v14
	v_mul_u32_u24_e32 v14, 0x21c, v4
	v_add_f32_e32 v4, v29, v1
	v_sub_f32_e32 v5, v28, v30
	v_mov_b32_e32 v32, v6
	v_mad_u32_u24 v33, v0, 12, 0
	v_lshlrev_b32_e32 v1, 2, v14
	v_fmac_f32_e32 v32, 0x3f5db3d7, v5
	v_add_u32_e32 v31, v33, v1
	ds_write2_b32 v31, v4, v32 offset1:1
	v_add_f32_e32 v32, v25, v12
	v_add_f32_e32 v4, v12, v17
	v_fmac_f32_e32 v17, -0.5, v32
	v_sub_f32_e32 v35, v13, v26
	v_mov_b32_e32 v32, v17
	v_add_f32_e32 v4, v25, v4
	v_fmac_f32_e32 v32, 0x3f5db3d7, v35
	ds_write2_b32 v31, v4, v32 offset0:162 offset1:163
	s_waitcnt vmcnt(0)
	v_add_f32_e32 v32, v8, v10
	v_add_f32_e32 v4, v10, v15
	v_fmac_f32_e32 v15, -0.5, v32
	v_sub_f32_e32 v36, v11, v9
	v_mov_b32_e32 v37, v15
	v_add_u32_e32 v34, 0x510, v33
	v_add_f32_e32 v4, v8, v4
	v_fmac_f32_e32 v37, 0x3f5db3d7, v36
	v_add_u32_e32 v32, v34, v1
	ds_write2_b32 v32, v4, v37 offset1:1
	v_add_f32_e32 v4, v23, v21
	v_fmac_f32_e32 v6, 0xbf5db3d7, v5
	v_fma_f32 v5, -0.5, v4, v19
	v_mov_b32_e32 v4, v5
	v_sub_f32_e32 v33, v22, v24
	v_fmac_f32_e32 v17, 0xbf5db3d7, v35
	v_fmac_f32_e32 v4, 0x3f5db3d7, v33
	;; [unrolled: 1-line block ×3, first 2 shown]
	v_cmp_gt_u32_e32 vcc, 18, v0
	v_add_u32_e32 v33, 0x288, v31
	v_fmac_f32_e32 v15, 0xbf5db3d7, v36
	ds_write2_b32 v31, v6, v17 offset0:2 offset1:164
	ds_write_b32 v32, v15 offset:8
	s_and_saveexec_b64 s[2:3], vcc
	s_cbranch_execz .LBB0_15
; %bb.14:
	v_add_f32_e32 v6, v21, v19
	v_add_f32_e32 v6, v23, v6
	v_lshl_add_u32 v14, v14, 2, v34
	ds_write2_b32 v14, v6, v4 offset0:162 offset1:163
	ds_write_b32 v14, v5 offset:656
.LBB0_15:
	s_or_b64 exec, exec, s[2:3]
	v_add_f32_e32 v14, v30, v28
	v_sub_f32_e32 v38, v10, v8
	v_lshlrev_b32_e32 v8, 2, v0
	v_add_f32_e32 v6, v28, v7
	v_fmac_f32_e32 v7, -0.5, v14
	v_add_f32_e32 v14, v13, v18
	v_sub_f32_e32 v35, v12, v25
	v_add_f32_e32 v12, v11, v16
	v_add3_u32 v25, 0, v1, v8
	v_add3_u32 v28, 0, v8, v1
	v_add_f32_e32 v6, v30, v6
	v_add_f32_e32 v30, v26, v14
	;; [unrolled: 1-line block ×5, first 2 shown]
	s_waitcnt lgkmcnt(0)
	s_barrier
	ds_read2_b32 v[14:15], v28 offset0:54 offset1:108
	ds_read2_b32 v[10:11], v28 offset0:162 offset1:216
	v_add_u32_e32 v17, 0x400, v28
	ds_read_b32 v19, v25
	ds_read_b32 v26, v28 offset:1944
	ds_read2_b32 v[12:13], v17 offset0:14 offset1:68
	ds_read2_b32 v[8:9], v17 offset0:122 offset1:176
	v_sub_f32_e32 v27, v27, v29
	v_mov_b32_e32 v29, v7
	v_fmac_f32_e32 v29, 0xbf5db3d7, v27
	s_waitcnt lgkmcnt(0)
	s_barrier
	ds_write2_b32 v31, v6, v29 offset1:1
	v_fmac_f32_e32 v7, 0x3f5db3d7, v27
	v_add_f32_e32 v6, v24, v22
	v_fmac_f32_e32 v18, -0.5, v34
	ds_write_b32 v31, v7 offset:8
	v_fma_f32 v7, -0.5, v6, v20
	v_mov_b32_e32 v29, v18
	v_fmac_f32_e32 v16, -0.5, v37
	v_sub_f32_e32 v21, v21, v23
	v_mov_b32_e32 v6, v7
	v_fmac_f32_e32 v29, 0xbf5db3d7, v35
	v_mov_b32_e32 v34, v16
	v_fmac_f32_e32 v6, 0xbf5db3d7, v21
	v_fmac_f32_e32 v7, 0x3f5db3d7, v21
	v_add_u32_e32 v27, 0xa2, v0
	v_fmac_f32_e32 v18, 0x3f5db3d7, v35
	v_fmac_f32_e32 v34, 0xbf5db3d7, v38
	;; [unrolled: 1-line block ×3, first 2 shown]
	ds_write2_b32 v33, v30, v29 offset1:1
	ds_write_b32 v33, v18 offset:8
	ds_write2_b32 v32, v36, v34 offset1:1
	ds_write_b32 v32, v16 offset:8
	s_and_saveexec_b64 s[2:3], vcc
	s_cbranch_execz .LBB0_17
; %bb.16:
	v_add_f32_e32 v16, v22, v20
	v_mul_u32_u24_e32 v18, 12, v27
	v_add_f32_e32 v16, v24, v16
	v_add3_u32 v18, 0, v18, v1
	ds_write2_b32 v18, v16, v6 offset1:1
	ds_write_b32 v18, v7 offset:8
.LBB0_17:
	s_or_b64 exec, exec, s[2:3]
	s_movk_i32 s2, 0xab
	v_mul_lo_u16_sdwa v16, v0, s2 dst_sel:DWORD dst_unused:UNUSED_PAD src0_sel:BYTE_0 src1_sel:DWORD
	v_lshrrev_b16_e32 v16, 9, v16
	v_mul_lo_u16_e32 v18, 3, v16
	v_sub_u16_e32 v20, v0, v18
	v_mov_b32_e32 v18, 9
	v_mul_u32_u24_sdwa v18, v20, v18 dst_sel:DWORD dst_unused:UNUSED_PAD src0_sel:BYTE_0 src1_sel:DWORD
	v_lshlrev_b32_e32 v18, 3, v18
	s_waitcnt lgkmcnt(0)
	s_barrier
	global_load_dwordx4 v[38:41], v18, s[8:9]
	global_load_dwordx4 v[42:45], v18, s[8:9] offset:16
	global_load_dwordx4 v[46:49], v18, s[8:9] offset:32
	global_load_dwordx4 v[50:53], v18, s[8:9] offset:48
	global_load_dwordx2 v[54:55], v18, s[8:9] offset:64
	ds_read2_b32 v[56:57], v28 offset0:54 offset1:108
	ds_read2_b32 v[58:59], v28 offset0:162 offset1:216
	;; [unrolled: 1-line block ×4, first 2 shown]
	s_movk_i32 s2, 0x78
	v_mov_b32_e32 v21, 2
	ds_read_b32 v24, v28 offset:1944
	ds_read_b32 v18, v25
	v_mad_u32_u24 v16, v16, s2, 0
	v_lshlrev_b32_sdwa v20, v21, v20 dst_sel:DWORD dst_unused:UNUSED_PAD src0_sel:DWORD src1_sel:BYTE_0
	v_add3_u32 v20, v16, v20, v1
	s_waitcnt vmcnt(0) lgkmcnt(0)
	s_barrier
	s_mov_b32 s2, 0x3f737871
	s_mov_b32 s7, 0xbf737871
	;; [unrolled: 1-line block ×3, first 2 shown]
	v_mul_f32_e32 v16, v56, v39
	v_mul_f32_e32 v21, v14, v39
	;; [unrolled: 1-line block ×10, first 2 shown]
	v_fma_f32 v22, v14, v38, -v16
	v_fma_f32 v37, v15, v40, -v29
	v_fmac_f32_e32 v21, v56, v38
	v_mul_f32_e32 v34, v26, v55
	v_fma_f32 v15, v10, v42, -v39
	v_fma_f32 v38, v11, v44, -v41
	;; [unrolled: 1-line block ×3, first 2 shown]
	v_mul_f32_e32 v30, v12, v47
	v_mul_f32_e32 v35, v13, v49
	;; [unrolled: 1-line block ×5, first 2 shown]
	v_fma_f32 v12, v12, v46, -v43
	v_fmac_f32_e32 v34, v24, v54
	v_add_f32_e32 v11, v38, v39
	v_add_f32_e32 v24, v22, v15
	v_mul_f32_e32 v31, v8, v51
	v_mul_f32_e32 v36, v9, v53
	v_fma_f32 v8, v8, v50, -v47
	v_fma_f32 v41, v9, v52, -v49
	;; [unrolled: 1-line block ×3, first 2 shown]
	v_fma_f32 v47, -0.5, v11, v19
	v_add_f32_e32 v11, v24, v12
	v_fmac_f32_e32 v32, v57, v40
	v_fmac_f32_e32 v23, v58, v42
	;; [unrolled: 1-line block ×4, first 2 shown]
	v_add_f32_e32 v10, v19, v37
	v_sub_f32_e32 v14, v37, v38
	v_sub_f32_e32 v16, v41, v39
	;; [unrolled: 1-line block ×4, first 2 shown]
	v_add_f32_e32 v11, v11, v8
	v_add_f32_e32 v14, v14, v16
	;; [unrolled: 1-line block ×8, first 2 shown]
	v_fma_f32 v11, -0.5, v11, v21
	v_fma_f32 v10, -0.5, v26, v22
	v_add_f32_e32 v49, v40, v41
	v_sub_f32_e32 v51, v15, v9
	v_mov_b32_e32 v40, v11
	v_fmac_f32_e32 v33, v59, v44
	v_fmac_f32_e32 v36, v63, v52
	v_sub_f32_e32 v29, v23, v34
	v_sub_f32_e32 v43, v23, v30
	;; [unrolled: 1-line block ×3, first 2 shown]
	v_mov_b32_e32 v26, v10
	v_fmac_f32_e32 v40, 0xbf737871, v51
	v_sub_f32_e32 v52, v12, v8
	v_fmac_f32_e32 v35, v61, v48
	v_sub_f32_e32 v13, v32, v36
	v_sub_f32_e32 v46, v30, v31
	v_add_f32_e32 v24, v43, v44
	v_mov_b32_e32 v48, v47
	v_fmac_f32_e32 v26, 0x3f737871, v29
	v_fmac_f32_e32 v40, 0xbf167918, v52
	v_sub_f32_e32 v45, v33, v35
	v_fmac_f32_e32 v48, 0x3f737871, v13
	v_fmac_f32_e32 v26, 0x3f167918, v46
	;; [unrolled: 1-line block ×5, first 2 shown]
	v_mul_f32_e32 v53, 0x3f167918, v40
	v_fmac_f32_e32 v48, 0x3e9e377a, v14
	v_fmac_f32_e32 v53, 0x3f4f1bbd, v26
	v_add_f32_e32 v42, v49, v50
	v_add_f32_e32 v43, v48, v53
	ds_write2_b32 v20, v42, v43 offset1:3
	v_add_f32_e32 v42, v37, v41
	v_fmac_f32_e32 v19, -0.5, v42
	v_mov_b32_e32 v54, v19
	v_sub_f32_e32 v42, v38, v37
	v_sub_f32_e32 v43, v39, v41
	v_fmac_f32_e32 v54, 0xbf737871, v45
	v_fmac_f32_e32 v19, 0x3f737871, v45
	v_add_f32_e32 v42, v42, v43
	v_fmac_f32_e32 v54, 0x3f167918, v13
	v_fmac_f32_e32 v19, 0xbf167918, v13
	;; [unrolled: 1-line block ×4, first 2 shown]
	v_add_f32_e32 v42, v15, v9
	v_fmac_f32_e32 v22, -0.5, v42
	v_mov_b32_e32 v42, v22
	v_sub_f32_e32 v12, v12, v15
	v_sub_f32_e32 v8, v8, v9
	v_fmac_f32_e32 v42, 0xbf737871, v46
	v_fmac_f32_e32 v22, 0x3f737871, v46
	v_add_f32_e32 v8, v12, v8
	v_fmac_f32_e32 v42, 0x3f167918, v29
	v_fmac_f32_e32 v22, 0xbf167918, v29
	;; [unrolled: 1-line block ×4, first 2 shown]
	v_sub_f32_e32 v8, v30, v23
	v_sub_f32_e32 v9, v31, v34
	v_add_f32_e32 v8, v8, v9
	v_add_f32_e32 v9, v23, v34
	v_fma_f32 v43, -0.5, v9, v21
	v_mov_b32_e32 v44, v43
	v_fmac_f32_e32 v44, 0x3f737871, v52
	v_fmac_f32_e32 v44, 0xbf167918, v51
	v_fmac_f32_e32 v43, 0xbf737871, v52
	v_fmac_f32_e32 v44, 0x3e9e377a, v8
	v_fmac_f32_e32 v43, 0x3f167918, v51
	v_fmac_f32_e32 v43, 0x3e9e377a, v8
	v_mul_f32_e32 v12, 0x3f737871, v44
	v_mul_f32_e32 v15, 0x3e9e377a, v22
	v_fmac_f32_e32 v10, 0xbf737871, v29
	v_fmac_f32_e32 v12, 0x3e9e377a, v42
	v_fma_f32 v15, v43, s2, -v15
	v_fmac_f32_e32 v10, 0xbf167918, v46
	v_fmac_f32_e32 v11, 0x3f737871, v51
	v_sub_f32_e32 v8, v48, v53
	v_sub_f32_e32 v9, v54, v12
	v_add_f32_e32 v12, v54, v12
	v_add_f32_e32 v48, v19, v15
	v_fmac_f32_e32 v47, 0xbf737871, v13
	v_fmac_f32_e32 v10, 0x3e9e377a, v16
	;; [unrolled: 1-line block ×3, first 2 shown]
	ds_write2_b32 v20, v12, v48 offset0:6 offset1:9
	v_fmac_f32_e32 v47, 0xbf167918, v45
	v_fmac_f32_e32 v11, 0x3e9e377a, v24
	s_mov_b32 s2, 0x3f167918
	v_mul_f32_e32 v12, 0x3f4f1bbd, v10
	v_fmac_f32_e32 v47, 0x3e9e377a, v14
	v_fma_f32 v14, v11, s2, -v12
	v_sub_f32_e32 v12, v19, v15
	v_sub_f32_e32 v13, v47, v14
	v_add_f32_e32 v14, v47, v14
	v_sub_f32_e32 v15, v49, v50
	ds_write2_b32 v20, v14, v15 offset0:12 offset1:15
	ds_write2_b32 v20, v8, v9 offset0:18 offset1:21
	;; [unrolled: 1-line block ×3, first 2 shown]
	s_waitcnt lgkmcnt(0)
	s_barrier
	ds_read2_b32 v[14:15], v17 offset0:14 offset1:104
	ds_read_b32 v24, v25
	ds_read_b32 v29, v28 offset:1800
	ds_read2_b32 v[16:17], v28 offset0:90 offset1:180
	v_cmp_gt_u32_e64 s[2:3], 36, v0
	s_and_saveexec_b64 s[4:5], s[2:3]
	s_cbranch_execz .LBB0_19
; %bb.18:
	v_add_u32_e32 v4, 0x200, v28
	ds_read2_b32 v[12:13], v4 offset0:106 offset1:196
	v_add_u32_e32 v4, 0x400, v28
	ds_read2_b32 v[8:9], v28 offset0:54 offset1:144
	ds_read2_b32 v[4:5], v4 offset0:158 offset1:248
.LBB0_19:
	s_or_b64 exec, exec, s[4:5]
	v_add_f32_e32 v45, v33, v35
	v_fma_f32 v45, -0.5, v45, v18
	v_sub_f32_e32 v37, v37, v41
	v_mov_b32_e32 v41, v45
	v_fmac_f32_e32 v41, 0xbf737871, v37
	v_sub_f32_e32 v38, v38, v39
	v_sub_f32_e32 v39, v32, v33
	;; [unrolled: 1-line block ×3, first 2 shown]
	v_fmac_f32_e32 v45, 0x3f737871, v37
	v_fmac_f32_e32 v41, 0xbf167918, v38
	v_add_f32_e32 v39, v39, v46
	v_fmac_f32_e32 v45, 0x3f167918, v38
	v_fmac_f32_e32 v41, 0x3e9e377a, v39
	;; [unrolled: 1-line block ×3, first 2 shown]
	v_add_f32_e32 v39, v32, v36
	v_add_f32_e32 v19, v18, v32
	v_fmac_f32_e32 v18, -0.5, v39
	v_add_f32_e32 v21, v21, v23
	v_add_f32_e32 v19, v19, v33
	v_mov_b32_e32 v39, v18
	v_add_f32_e32 v21, v21, v30
	v_add_f32_e32 v19, v19, v35
	v_fmac_f32_e32 v39, 0x3f737871, v38
	v_sub_f32_e32 v32, v33, v32
	v_sub_f32_e32 v33, v35, v36
	v_fmac_f32_e32 v18, 0xbf737871, v38
	v_add_f32_e32 v21, v21, v31
	v_mul_f32_e32 v26, 0xbf167918, v26
	v_add_f32_e32 v19, v19, v36
	v_fmac_f32_e32 v39, 0xbf167918, v37
	v_add_f32_e32 v32, v32, v33
	v_fmac_f32_e32 v18, 0x3f167918, v37
	;; [unrolled: 2-line block ×3, first 2 shown]
	v_mul_f32_e32 v31, 0xbf737871, v42
	v_mul_f32_e32 v33, 0x3e9e377a, v43
	;; [unrolled: 1-line block ×3, first 2 shown]
	v_fmac_f32_e32 v39, 0x3e9e377a, v32
	v_fmac_f32_e32 v18, 0x3e9e377a, v32
	v_add_f32_e32 v23, v19, v21
	v_add_f32_e32 v30, v41, v26
	v_fmac_f32_e32 v31, 0x3e9e377a, v44
	v_fma_f32 v22, v22, s7, -v33
	v_fma_f32 v34, v10, s6, -v11
	v_add_f32_e32 v32, v39, v31
	v_add_f32_e32 v33, v18, v22
	;; [unrolled: 1-line block ×3, first 2 shown]
	v_sub_f32_e32 v21, v19, v21
	v_sub_f32_e32 v10, v41, v26
	;; [unrolled: 1-line block ×5, first 2 shown]
	s_waitcnt lgkmcnt(0)
	s_barrier
	ds_write2_b32 v20, v23, v30 offset1:3
	ds_write2_b32 v20, v32, v33 offset0:6 offset1:9
	ds_write2_b32 v20, v35, v21 offset0:12 offset1:15
	;; [unrolled: 1-line block ×4, first 2 shown]
	v_add_u32_e32 v30, 0x400, v28
	s_waitcnt lgkmcnt(0)
	s_barrier
	ds_read2_b32 v[22:23], v28 offset0:90 offset1:180
	ds_read2_b32 v[20:21], v30 offset0:14 offset1:104
	ds_read_b32 v26, v25
	ds_read_b32 v32, v28 offset:1800
	s_and_saveexec_b64 s[4:5], s[2:3]
	s_cbranch_execz .LBB0_21
; %bb.20:
	v_add_u32_e32 v6, 0x200, v28
	ds_read2_b32 v[10:11], v28 offset0:54 offset1:144
	ds_read2_b32 v[18:19], v6 offset0:106 offset1:196
	;; [unrolled: 1-line block ×3, first 2 shown]
.LBB0_21:
	s_or_b64 exec, exec, s[4:5]
	v_subrev_u32_e32 v30, 30, v0
	v_cmp_gt_u32_e64 s[4:5], 30, v0
	v_cndmask_b32_e64 v59, v30, v0, s[4:5]
	v_mul_i32_i24_e32 v30, 5, v59
	v_mov_b32_e32 v31, 0
	v_lshlrev_b64 v[30:31], 3, v[30:31]
	v_mov_b32_e32 v33, s9
	v_add_co_u32_e64 v30, s[4:5], s8, v30
	v_addc_co_u32_e64 v31, s[4:5], v33, v31, s[4:5]
	global_load_dwordx4 v[39:42], v[30:31], off offset:216
	global_load_dwordx4 v[43:46], v[30:31], off offset:232
	global_load_dwordx2 v[55:56], v[30:31], off offset:248
	v_add_u32_e32 v30, 54, v0
	s_movk_i32 s4, 0x89
	v_mul_lo_u16_sdwa v33, v30, s4 dst_sel:DWORD dst_unused:UNUSED_PAD src0_sel:BYTE_0 src1_sel:DWORD
	v_lshrrev_b16_e32 v33, 12, v33
	v_mul_lo_u16_e32 v34, 30, v33
	v_mov_b32_e32 v31, 5
	v_sub_u16_e32 v34, v30, v34
	v_mul_u32_u24_sdwa v31, v34, v31 dst_sel:DWORD dst_unused:UNUSED_PAD src0_sel:BYTE_0 src1_sel:DWORD
	v_lshlrev_b32_e32 v31, 3, v31
	global_load_dwordx4 v[47:50], v31, s[8:9] offset:216
	global_load_dwordx4 v[51:54], v31, s[8:9] offset:232
	global_load_dwordx2 v[57:58], v31, s[8:9] offset:248
	v_cmp_lt_u32_e64 s[4:5], 29, v0
	s_movk_i32 s6, 0x2d0
	s_waitcnt vmcnt(0) lgkmcnt(0)
	s_barrier
	v_mul_f32_e32 v60, v22, v40
	v_mul_f32_e32 v31, v16, v40
	;; [unrolled: 1-line block ×10, first 2 shown]
	v_fma_f32 v16, v16, v39, -v60
	v_fmac_f32_e32 v31, v22, v39
	v_fma_f32 v39, v17, v41, -v40
	v_fmac_f32_e32 v37, v23, v41
	v_fma_f32 v14, v14, v43, -v42
	v_fma_f32 v40, v15, v45, -v44
	;; [unrolled: 1-line block ×3, first 2 shown]
	v_mul_f32_e32 v15, v9, v48
	v_mul_f32_e32 v41, v4, v54
	v_fmac_f32_e32 v35, v20, v43
	v_fmac_f32_e32 v38, v21, v45
	;; [unrolled: 1-line block ×3, first 2 shown]
	v_mul_f32_e32 v22, v11, v48
	v_mul_f32_e32 v29, v18, v50
	v_mul_f32_e32 v21, v12, v50
	v_mul_f32_e32 v20, v13, v52
	v_mul_f32_e32 v43, v6, v54
	v_mul_f32_e32 v44, v7, v58
	v_mul_f32_e32 v23, v5, v58
	v_fmac_f32_e32 v15, v11, v47
	v_fmac_f32_e32 v41, v6, v53
	v_add_f32_e32 v6, v39, v40
	v_add_f32_e32 v11, v14, v17
	v_mul_f32_e32 v32, v19, v52
	v_fma_f32 v42, v12, v49, -v29
	v_fmac_f32_e32 v21, v18, v49
	v_fmac_f32_e32 v20, v19, v51
	v_fma_f32 v19, v4, v53, -v43
	v_fma_f32 v4, v5, v57, -v44
	v_fmac_f32_e32 v23, v7, v57
	v_add_f32_e32 v5, v24, v39
	v_add_f32_e32 v7, v16, v14
	v_sub_f32_e32 v12, v35, v36
	v_add_f32_e32 v18, v35, v36
	v_fmac_f32_e32 v24, -0.5, v6
	v_fmac_f32_e32 v16, -0.5, v11
	v_fma_f32 v22, v9, v47, -v22
	v_sub_f32_e32 v9, v37, v38
	v_sub_f32_e32 v14, v14, v17
	v_add_f32_e32 v17, v7, v17
	v_fma_f32 v6, -0.5, v18, v31
	v_mov_b32_e32 v11, v24
	v_mov_b32_e32 v7, v16
	v_fmac_f32_e32 v16, 0xbf5db3d7, v12
	v_add_f32_e32 v5, v5, v40
	v_fmac_f32_e32 v24, 0xbf5db3d7, v9
	v_mov_b32_e32 v43, v6
	v_fmac_f32_e32 v6, 0x3f5db3d7, v14
	v_fmac_f32_e32 v11, 0x3f5db3d7, v9
	v_mul_f32_e32 v9, -0.5, v16
	v_add_f32_e32 v18, v5, v17
	v_fmac_f32_e32 v43, 0xbf5db3d7, v14
	v_fmac_f32_e32 v9, 0x3f5db3d7, v6
	v_sub_f32_e32 v17, v5, v17
	v_add_f32_e32 v5, v8, v42
	v_fma_f32 v13, v13, v51, -v32
	v_fmac_f32_e32 v7, 0x3f5db3d7, v12
	v_mul_f32_e32 v12, 0x3f5db3d7, v43
	v_add_f32_e32 v32, v24, v9
	v_sub_f32_e32 v49, v24, v9
	v_add_f32_e32 v9, v5, v19
	v_add_f32_e32 v5, v42, v19
	v_fmac_f32_e32 v12, 0.5, v7
	v_fmac_f32_e32 v8, -0.5, v5
	v_add_f32_e32 v47, v11, v12
	v_sub_f32_e32 v48, v11, v12
	v_sub_f32_e32 v5, v21, v41
	v_mov_b32_e32 v11, v8
	v_fmac_f32_e32 v11, 0x3f5db3d7, v5
	v_fmac_f32_e32 v8, 0xbf5db3d7, v5
	v_add_f32_e32 v5, v22, v13
	v_add_f32_e32 v12, v5, v4
	;; [unrolled: 1-line block ×3, first 2 shown]
	v_fmac_f32_e32 v22, -0.5, v5
	v_sub_f32_e32 v5, v20, v23
	v_mov_b32_e32 v24, v22
	v_fmac_f32_e32 v24, 0x3f5db3d7, v5
	v_fmac_f32_e32 v22, 0xbf5db3d7, v5
	v_add_f32_e32 v5, v20, v23
	v_fma_f32 v44, -0.5, v5, v15
	v_sub_f32_e32 v4, v13, v4
	v_mov_b32_e32 v45, v44
	v_fmac_f32_e32 v45, 0xbf5db3d7, v4
	v_mov_b32_e32 v46, 0x2d0
	v_fmac_f32_e32 v44, 0x3f5db3d7, v4
	v_mul_f32_e32 v13, 0x3f5db3d7, v45
	v_mul_f32_e32 v14, -0.5, v22
	v_cndmask_b32_e64 v46, 0, v46, s[4:5]
	v_fmac_f32_e32 v13, 0.5, v24
	v_fmac_f32_e32 v14, 0x3f5db3d7, v44
	v_add_u32_e32 v46, 0, v46
	v_lshlrev_b32_e32 v50, 2, v59
	v_sub_f32_e32 v4, v9, v12
	v_sub_f32_e32 v5, v11, v13
	;; [unrolled: 1-line block ×3, first 2 shown]
	v_add3_u32 v46, v46, v50, v1
	ds_write2_b32 v46, v18, v47 offset1:30
	ds_write2_b32 v46, v32, v17 offset0:60 offset1:90
	ds_write2_b32 v46, v48, v49 offset0:120 offset1:150
	s_and_saveexec_b64 s[4:5], s[2:3]
	s_cbranch_execz .LBB0_23
; %bb.22:
	v_add_f32_e32 v11, v11, v13
	v_mov_b32_e32 v13, 2
	v_add_f32_e32 v9, v9, v12
	v_mad_u32_u24 v12, v33, s6, 0
	v_lshlrev_b32_sdwa v13, v13, v34 dst_sel:DWORD dst_unused:UNUSED_PAD src0_sel:DWORD src1_sel:BYTE_0
	v_add3_u32 v12, v12, v13, v1
	v_add_f32_e32 v8, v8, v14
	ds_write2_b32 v12, v9, v11 offset1:30
	ds_write2_b32 v12, v8, v4 offset0:60 offset1:90
	ds_write2_b32 v12, v5, v29 offset0:120 offset1:150
.LBB0_23:
	s_or_b64 exec, exec, s[4:5]
	v_add_u32_e32 v17, 0x400, v28
	s_waitcnt lgkmcnt(0)
	s_barrier
	ds_read_b32 v32, v25
	ds_read2_b32 v[11:12], v28 offset0:180 offset1:234
	ds_read2_b32 v[13:14], v17 offset0:32 offset1:104
	;; [unrolled: 1-line block ×4, first 2 shown]
	s_and_saveexec_b64 s[4:5], vcc
	s_cbranch_execz .LBB0_25
; %bb.24:
	v_add_u32_e32 v4, 0x200, v28
	ds_read2_b32 v[4:5], v4 offset0:34 offset1:214
	ds_read_b32 v29, v28 offset:2088
.LBB0_25:
	s_or_b64 exec, exec, s[4:5]
	v_add_f32_e32 v47, v26, v37
	v_add_f32_e32 v37, v37, v38
	v_fmac_f32_e32 v26, -0.5, v37
	v_sub_f32_e32 v37, v39, v40
	v_mul_f32_e32 v6, -0.5, v6
	v_add_f32_e32 v47, v47, v38
	v_mov_b32_e32 v38, v26
	v_fmac_f32_e32 v26, 0x3f5db3d7, v37
	v_fmac_f32_e32 v6, 0xbf5db3d7, v16
	v_fmac_f32_e32 v38, 0xbf5db3d7, v37
	v_add_f32_e32 v37, v26, v6
	v_sub_f32_e32 v26, v26, v6
	v_add_f32_e32 v6, v10, v21
	v_add_f32_e32 v16, v6, v41
	;; [unrolled: 1-line block ×3, first 2 shown]
	v_fmac_f32_e32 v10, -0.5, v6
	v_sub_f32_e32 v6, v42, v19
	v_mov_b32_e32 v19, v10
	v_add_f32_e32 v31, v31, v35
	v_mul_f32_e32 v7, 0xbf5db3d7, v7
	v_fmac_f32_e32 v19, 0xbf5db3d7, v6
	v_fmac_f32_e32 v10, 0x3f5db3d7, v6
	v_add_f32_e32 v6, v15, v20
	v_mul_f32_e32 v20, 0xbf5db3d7, v24
	v_mul_f32_e32 v21, -0.5, v44
	v_add_f32_e32 v31, v31, v36
	v_fmac_f32_e32 v7, 0.5, v43
	v_add_f32_e32 v15, v6, v23
	v_fmac_f32_e32 v20, 0.5, v45
	v_fmac_f32_e32 v21, 0xbf5db3d7, v22
	v_add_f32_e32 v35, v47, v31
	v_add_f32_e32 v36, v38, v7
	v_sub_f32_e32 v39, v47, v31
	v_sub_f32_e32 v38, v38, v7
	;; [unrolled: 1-line block ×5, first 2 shown]
	s_waitcnt lgkmcnt(0)
	s_barrier
	ds_write2_b32 v46, v35, v36 offset1:30
	ds_write2_b32 v46, v37, v39 offset0:60 offset1:90
	ds_write2_b32 v46, v38, v26 offset0:120 offset1:150
	s_and_saveexec_b64 s[4:5], s[2:3]
	s_cbranch_execz .LBB0_27
; %bb.26:
	v_add_f32_e32 v15, v16, v15
	v_add_f32_e32 v16, v19, v20
	s_movk_i32 s2, 0x2d0
	v_mov_b32_e32 v20, 2
	v_mad_u32_u24 v19, v33, s2, 0
	v_lshlrev_b32_sdwa v20, v20, v34 dst_sel:DWORD dst_unused:UNUSED_PAD src0_sel:DWORD src1_sel:BYTE_0
	v_add3_u32 v1, v19, v20, v1
	v_add_f32_e32 v10, v10, v21
	ds_write2_b32 v1, v15, v16 offset1:30
	ds_write2_b32 v1, v10, v6 offset0:60 offset1:90
	ds_write2_b32 v1, v7, v31 offset0:120 offset1:150
.LBB0_27:
	s_or_b64 exec, exec, s[4:5]
	v_add_u32_e32 v10, 0x400, v28
	s_waitcnt lgkmcnt(0)
	s_barrier
	ds_read_b32 v1, v25
	ds_read2_b32 v[21:22], v28 offset0:180 offset1:234
	ds_read2_b32 v[23:24], v10 offset0:32 offset1:104
	;; [unrolled: 1-line block ×4, first 2 shown]
	s_and_saveexec_b64 s[2:3], vcc
	s_cbranch_execz .LBB0_29
; %bb.28:
	v_add_u32_e32 v6, 0x200, v28
	ds_read2_b32 v[6:7], v6 offset0:34 offset1:214
	ds_read_b32 v31, v28 offset:2088
.LBB0_29:
	s_or_b64 exec, exec, s[2:3]
	s_and_saveexec_b64 s[2:3], s[0:1]
	s_cbranch_execz .LBB0_32
; %bb.30:
	v_add_u32_e32 v28, 0x6c, v0
	v_lshlrev_b32_e32 v15, 1, v28
	v_mov_b32_e32 v16, 0
	v_lshlrev_b64 v[33:34], 3, v[15:16]
	v_lshlrev_b32_e32 v15, 1, v30
	v_mov_b32_e32 v10, s9
	v_add_co_u32_e64 v33, s[0:1], s8, v33
	v_lshlrev_b64 v[37:38], 3, v[15:16]
	v_addc_co_u32_e64 v34, s[0:1], v10, v34, s[0:1]
	v_lshlrev_b32_e32 v15, 1, v0
	v_add_co_u32_e64 v37, s[0:1], s8, v37
	v_lshlrev_b64 v[41:42], 3, v[15:16]
	v_addc_co_u32_e64 v38, s[0:1], v10, v38, s[0:1]
	global_load_dwordx4 v[33:36], v[33:34], off offset:1416
	v_add_co_u32_e64 v41, s[0:1], s8, v41
	global_load_dwordx4 v[37:40], v[37:38], off offset:1416
	v_addc_co_u32_e64 v42, s[0:1], v10, v42, s[0:1]
	global_load_dwordx4 v[41:44], v[41:42], off offset:1416
	s_waitcnt vmcnt(2) lgkmcnt(2)
	v_mul_f32_e32 v10, v23, v34
	v_mul_f32_e32 v30, v13, v34
	;; [unrolled: 1-line block ×3, first 2 shown]
	s_waitcnt lgkmcnt(0)
	v_mul_f32_e32 v15, v26, v36
	v_fma_f32 v10, v13, v33, -v10
	v_fmac_f32_e32 v30, v23, v33
	v_fmac_f32_e32 v34, v26, v35
	s_waitcnt vmcnt(1)
	v_mul_f32_e32 v13, v22, v38
	v_mul_f32_e32 v23, v12, v38
	;; [unrolled: 1-line block ×3, first 2 shown]
	v_fma_f32 v15, v18, v35, -v15
	v_mul_f32_e32 v18, v25, v40
	v_add_f32_e32 v35, v30, v34
	v_add_f32_e32 v36, v20, v30
	;; [unrolled: 1-line block ×3, first 2 shown]
	v_fma_f32 v45, v12, v37, -v13
	v_fmac_f32_e32 v23, v22, v37
	v_fmac_f32_e32 v26, v25, v39
	s_waitcnt vmcnt(0)
	v_mul_f32_e32 v22, v11, v42
	v_mul_f32_e32 v25, v14, v44
	v_sub_f32_e32 v33, v10, v15
	v_add_f32_e32 v38, v10, v15
	v_fma_f32 v46, v17, v39, -v18
	v_mul_f32_e32 v17, v21, v42
	v_fma_f32 v10, -0.5, v35, v20
	v_add_f32_e32 v13, v36, v34
	v_add_f32_e32 v12, v40, v15
	;; [unrolled: 1-line block ×4, first 2 shown]
	v_sub_f32_e32 v36, v23, v26
	v_add_f32_e32 v23, v8, v45
	v_fmac_f32_e32 v22, v21, v41
	v_fmac_f32_e32 v25, v24, v43
	v_mul_f32_e32 v18, v24, v44
	v_fma_f32 v11, v11, v41, -v17
	v_fma_f32 v15, -0.5, v15, v19
	v_add_f32_e32 v19, v23, v46
	v_add_f32_e32 v23, v22, v25
	v_sub_f32_e32 v30, v30, v34
	v_fma_f32 v9, -0.5, v38, v9
	v_sub_f32_e32 v34, v45, v46
	v_add_f32_e32 v35, v45, v46
	v_fma_f32 v37, v14, v43, -v18
	v_add_f32_e32 v20, v20, v26
	v_add_f32_e32 v26, v1, v22
	v_sub_f32_e32 v38, v22, v25
	v_mov_b32_e32 v22, v15
	v_fma_f32 v24, -0.5, v23, v1
	v_add_f32_e32 v1, v32, v11
	v_fma_f32 v14, -0.5, v35, v8
	v_sub_f32_e32 v8, v11, v37
	v_fmac_f32_e32 v15, 0xbf5db3d7, v34
	v_add_f32_e32 v26, v26, v25
	v_fmac_f32_e32 v22, 0x3f5db3d7, v34
	v_mov_b32_e32 v34, v24
	v_add_f32_e32 v25, v1, v37
	v_mov_b32_e32 v1, v16
	v_add_f32_e32 v35, v11, v37
	v_fmac_f32_e32 v24, 0xbf5db3d7, v8
	v_fmac_f32_e32 v34, 0x3f5db3d7, v8
	v_mov_b32_e32 v8, s13
	v_add_co_u32_e64 v11, s[0:1], s12, v2
	v_lshlrev_b64 v[1:2], 3, v[0:1]
	v_addc_co_u32_e64 v3, s[0:1], v8, v3, s[0:1]
	v_add_co_u32_e64 v1, s[0:1], v11, v1
	v_addc_co_u32_e64 v2, s[0:1], v3, v2, s[0:1]
	v_lshrrev_b32_e32 v3, 2, v28
	s_mov_b32 s0, 0x16c16c17
	v_mul_hi_u32 v3, v3, s0
	v_mov_b32_e32 v18, v10
	v_fma_f32 v23, -0.5, v35, v32
	v_fmac_f32_e32 v10, 0xbf5db3d7, v33
	v_fmac_f32_e32 v18, 0x3f5db3d7, v33
	v_mov_b32_e32 v21, v14
	v_mov_b32_e32 v33, v23
	v_lshrrev_b32_e32 v3, 2, v3
	v_fmac_f32_e32 v14, 0x3f5db3d7, v36
	v_fmac_f32_e32 v21, 0xbf5db3d7, v36
	;; [unrolled: 1-line block ×4, first 2 shown]
	global_store_dwordx2 v[1:2], v[25:26], off
	global_store_dwordx2 v[1:2], v[23:24], off offset:1440
	global_store_dwordx2 v[1:2], v[33:34], off offset:2880
	;; [unrolled: 1-line block ×5, first 2 shown]
	v_mul_u32_u24_e32 v15, 0x168, v3
	v_lshlrev_b64 v[14:15], 3, v[15:16]
	v_mov_b32_e32 v17, v9
	v_add_co_u32_e64 v14, s[0:1], v1, v14
	v_addc_co_u32_e64 v15, s[0:1], v2, v15, s[0:1]
	v_fmac_f32_e32 v9, 0x3f5db3d7, v30
	v_fmac_f32_e32 v17, 0xbf5db3d7, v30
	global_store_dwordx2 v[14:15], v[12:13], off offset:864
	global_store_dwordx2 v[14:15], v[9:10], off offset:2304
	;; [unrolled: 1-line block ×3, first 2 shown]
	s_and_b64 exec, exec, vcc
	s_cbranch_execz .LBB0_32
; %bb.31:
	v_subrev_u32_e32 v0, 18, v0
	v_cndmask_b32_e32 v0, v0, v27, vcc
	v_lshlrev_b32_e32 v15, 1, v0
	v_lshlrev_b64 v[8:9], 3, v[15:16]
	v_mov_b32_e32 v0, s9
	v_add_co_u32_e32 v8, vcc, s8, v8
	v_addc_co_u32_e32 v9, vcc, v0, v9, vcc
	global_load_dwordx4 v[8:11], v[8:9], off offset:1416
	v_add_co_u32_e32 v12, vcc, 0x1000, v1
	v_addc_co_u32_e32 v13, vcc, 0, v2, vcc
	s_waitcnt vmcnt(0)
	v_mul_f32_e32 v0, v7, v9
	v_mul_f32_e32 v3, v5, v9
	;; [unrolled: 1-line block ×4, first 2 shown]
	v_fma_f32 v0, v5, v8, -v0
	v_fmac_f32_e32 v3, v7, v8
	v_fma_f32 v5, v29, v10, -v9
	v_fmac_f32_e32 v11, v31, v10
	v_add_f32_e32 v8, v0, v5
	v_sub_f32_e32 v14, v3, v11
	v_add_f32_e32 v9, v6, v3
	v_add_f32_e32 v3, v3, v11
	;; [unrolled: 1-line block ×3, first 2 shown]
	v_fmac_f32_e32 v4, -0.5, v8
	v_fmac_f32_e32 v6, -0.5, v3
	v_sub_f32_e32 v0, v0, v5
	v_add_f32_e32 v8, v9, v11
	v_mov_b32_e32 v9, v4
	v_mov_b32_e32 v10, v6
	v_add_f32_e32 v7, v7, v5
	v_fmac_f32_e32 v6, 0x3f5db3d7, v0
	v_fmac_f32_e32 v9, 0x3f5db3d7, v14
	v_fmac_f32_e32 v10, 0xbf5db3d7, v0
	v_fmac_f32_e32 v4, 0xbf5db3d7, v14
	global_store_dwordx2 v[1:2], v[7:8], off offset:1296
	v_mov_b32_e32 v5, v6
	global_store_dwordx2 v[1:2], v[9:10], off offset:2736
	global_store_dwordx2 v[12:13], v[4:5], off offset:80
.LBB0_32:
	s_endpgm
	.section	.rodata,"a",@progbits
	.p2align	6, 0x0
	.amdhsa_kernel fft_rtc_fwd_len540_factors_3_10_6_3_wgs_216_tpt_54_halfLds_sp_ip_CI_unitstride_sbrr_dirReg
		.amdhsa_group_segment_fixed_size 0
		.amdhsa_private_segment_fixed_size 0
		.amdhsa_kernarg_size 88
		.amdhsa_user_sgpr_count 6
		.amdhsa_user_sgpr_private_segment_buffer 1
		.amdhsa_user_sgpr_dispatch_ptr 0
		.amdhsa_user_sgpr_queue_ptr 0
		.amdhsa_user_sgpr_kernarg_segment_ptr 1
		.amdhsa_user_sgpr_dispatch_id 0
		.amdhsa_user_sgpr_flat_scratch_init 0
		.amdhsa_user_sgpr_private_segment_size 0
		.amdhsa_uses_dynamic_stack 0
		.amdhsa_system_sgpr_private_segment_wavefront_offset 0
		.amdhsa_system_sgpr_workgroup_id_x 1
		.amdhsa_system_sgpr_workgroup_id_y 0
		.amdhsa_system_sgpr_workgroup_id_z 0
		.amdhsa_system_sgpr_workgroup_info 0
		.amdhsa_system_vgpr_workitem_id 0
		.amdhsa_next_free_vgpr 64
		.amdhsa_next_free_sgpr 22
		.amdhsa_reserve_vcc 1
		.amdhsa_reserve_flat_scratch 0
		.amdhsa_float_round_mode_32 0
		.amdhsa_float_round_mode_16_64 0
		.amdhsa_float_denorm_mode_32 3
		.amdhsa_float_denorm_mode_16_64 3
		.amdhsa_dx10_clamp 1
		.amdhsa_ieee_mode 1
		.amdhsa_fp16_overflow 0
		.amdhsa_exception_fp_ieee_invalid_op 0
		.amdhsa_exception_fp_denorm_src 0
		.amdhsa_exception_fp_ieee_div_zero 0
		.amdhsa_exception_fp_ieee_overflow 0
		.amdhsa_exception_fp_ieee_underflow 0
		.amdhsa_exception_fp_ieee_inexact 0
		.amdhsa_exception_int_div_zero 0
	.end_amdhsa_kernel
	.text
.Lfunc_end0:
	.size	fft_rtc_fwd_len540_factors_3_10_6_3_wgs_216_tpt_54_halfLds_sp_ip_CI_unitstride_sbrr_dirReg, .Lfunc_end0-fft_rtc_fwd_len540_factors_3_10_6_3_wgs_216_tpt_54_halfLds_sp_ip_CI_unitstride_sbrr_dirReg
                                        ; -- End function
	.section	.AMDGPU.csdata,"",@progbits
; Kernel info:
; codeLenInByte = 5724
; NumSgprs: 26
; NumVgprs: 64
; ScratchSize: 0
; MemoryBound: 0
; FloatMode: 240
; IeeeMode: 1
; LDSByteSize: 0 bytes/workgroup (compile time only)
; SGPRBlocks: 3
; VGPRBlocks: 15
; NumSGPRsForWavesPerEU: 26
; NumVGPRsForWavesPerEU: 64
; Occupancy: 4
; WaveLimiterHint : 1
; COMPUTE_PGM_RSRC2:SCRATCH_EN: 0
; COMPUTE_PGM_RSRC2:USER_SGPR: 6
; COMPUTE_PGM_RSRC2:TRAP_HANDLER: 0
; COMPUTE_PGM_RSRC2:TGID_X_EN: 1
; COMPUTE_PGM_RSRC2:TGID_Y_EN: 0
; COMPUTE_PGM_RSRC2:TGID_Z_EN: 0
; COMPUTE_PGM_RSRC2:TIDIG_COMP_CNT: 0
	.type	__hip_cuid_81c9860bf802f92b,@object ; @__hip_cuid_81c9860bf802f92b
	.section	.bss,"aw",@nobits
	.globl	__hip_cuid_81c9860bf802f92b
__hip_cuid_81c9860bf802f92b:
	.byte	0                               ; 0x0
	.size	__hip_cuid_81c9860bf802f92b, 1

	.ident	"AMD clang version 19.0.0git (https://github.com/RadeonOpenCompute/llvm-project roc-6.4.0 25133 c7fe45cf4b819c5991fe208aaa96edf142730f1d)"
	.section	".note.GNU-stack","",@progbits
	.addrsig
	.addrsig_sym __hip_cuid_81c9860bf802f92b
	.amdgpu_metadata
---
amdhsa.kernels:
  - .args:
      - .actual_access:  read_only
        .address_space:  global
        .offset:         0
        .size:           8
        .value_kind:     global_buffer
      - .offset:         8
        .size:           8
        .value_kind:     by_value
      - .actual_access:  read_only
        .address_space:  global
        .offset:         16
        .size:           8
        .value_kind:     global_buffer
      - .actual_access:  read_only
        .address_space:  global
        .offset:         24
        .size:           8
        .value_kind:     global_buffer
      - .offset:         32
        .size:           8
        .value_kind:     by_value
      - .actual_access:  read_only
        .address_space:  global
        .offset:         40
        .size:           8
        .value_kind:     global_buffer
      - .actual_access:  read_only
        .address_space:  global
        .offset:         48
        .size:           8
        .value_kind:     global_buffer
      - .offset:         56
        .size:           4
        .value_kind:     by_value
      - .actual_access:  read_only
        .address_space:  global
        .offset:         64
        .size:           8
        .value_kind:     global_buffer
      - .actual_access:  read_only
        .address_space:  global
        .offset:         72
        .size:           8
        .value_kind:     global_buffer
      - .address_space:  global
        .offset:         80
        .size:           8
        .value_kind:     global_buffer
    .group_segment_fixed_size: 0
    .kernarg_segment_align: 8
    .kernarg_segment_size: 88
    .language:       OpenCL C
    .language_version:
      - 2
      - 0
    .max_flat_workgroup_size: 216
    .name:           fft_rtc_fwd_len540_factors_3_10_6_3_wgs_216_tpt_54_halfLds_sp_ip_CI_unitstride_sbrr_dirReg
    .private_segment_fixed_size: 0
    .sgpr_count:     26
    .sgpr_spill_count: 0
    .symbol:         fft_rtc_fwd_len540_factors_3_10_6_3_wgs_216_tpt_54_halfLds_sp_ip_CI_unitstride_sbrr_dirReg.kd
    .uniform_work_group_size: 1
    .uses_dynamic_stack: false
    .vgpr_count:     64
    .vgpr_spill_count: 0
    .wavefront_size: 64
amdhsa.target:   amdgcn-amd-amdhsa--gfx906
amdhsa.version:
  - 1
  - 2
...

	.end_amdgpu_metadata
